;; amdgpu-corpus repo=ROCm/rocFFT kind=compiled arch=gfx906 opt=O3
	.text
	.amdgcn_target "amdgcn-amd-amdhsa--gfx906"
	.amdhsa_code_object_version 6
	.protected	fft_rtc_fwd_len117_factors_13_9_wgs_52_tpt_13_halfLds_dp_op_CI_CI_unitstride_sbrr_dirReg ; -- Begin function fft_rtc_fwd_len117_factors_13_9_wgs_52_tpt_13_halfLds_dp_op_CI_CI_unitstride_sbrr_dirReg
	.globl	fft_rtc_fwd_len117_factors_13_9_wgs_52_tpt_13_halfLds_dp_op_CI_CI_unitstride_sbrr_dirReg
	.p2align	8
	.type	fft_rtc_fwd_len117_factors_13_9_wgs_52_tpt_13_halfLds_dp_op_CI_CI_unitstride_sbrr_dirReg,@function
fft_rtc_fwd_len117_factors_13_9_wgs_52_tpt_13_halfLds_dp_op_CI_CI_unitstride_sbrr_dirReg: ; @fft_rtc_fwd_len117_factors_13_9_wgs_52_tpt_13_halfLds_dp_op_CI_CI_unitstride_sbrr_dirReg
; %bb.0:
	s_load_dwordx4 s[8:11], s[4:5], 0x58
	s_load_dwordx4 s[12:15], s[4:5], 0x0
	;; [unrolled: 1-line block ×3, first 2 shown]
	v_mul_u32_u24_e32 v1, 0x13b2, v0
	v_lshrrev_b32_e32 v54, 16, v1
	v_mov_b32_e32 v1, 0
	s_waitcnt lgkmcnt(0)
	v_cmp_lt_u64_e64 s[0:1], s[14:15], 2
	v_mov_b32_e32 v52, 0
	v_lshl_add_u32 v3, s6, 2, v54
	v_mov_b32_e32 v4, v1
	s_and_b64 vcc, exec, s[0:1]
	v_mov_b32_e32 v53, 0
	s_cbranch_vccnz .LBB0_8
; %bb.1:
	s_load_dwordx2 s[0:1], s[4:5], 0x10
	s_add_u32 s2, s18, 8
	s_addc_u32 s3, s19, 0
	s_add_u32 s6, s16, 8
	v_mov_b32_e32 v52, 0
	s_addc_u32 s7, s17, 0
	v_mov_b32_e32 v53, 0
	s_waitcnt lgkmcnt(0)
	s_add_u32 s20, s0, 8
	v_mov_b32_e32 v69, v53
	s_addc_u32 s21, s1, 0
	s_mov_b64 s[22:23], 1
	v_mov_b32_e32 v68, v52
.LBB0_2:                                ; =>This Inner Loop Header: Depth=1
	s_load_dwordx2 s[24:25], s[20:21], 0x0
                                        ; implicit-def: $vgpr70_vgpr71
	s_waitcnt lgkmcnt(0)
	v_or_b32_e32 v2, s25, v4
	v_cmp_ne_u64_e32 vcc, 0, v[1:2]
	s_and_saveexec_b64 s[0:1], vcc
	s_xor_b64 s[26:27], exec, s[0:1]
	s_cbranch_execz .LBB0_4
; %bb.3:                                ;   in Loop: Header=BB0_2 Depth=1
	v_cvt_f32_u32_e32 v2, s24
	v_cvt_f32_u32_e32 v5, s25
	s_sub_u32 s0, 0, s24
	s_subb_u32 s1, 0, s25
	v_mac_f32_e32 v2, 0x4f800000, v5
	v_rcp_f32_e32 v2, v2
	v_mul_f32_e32 v2, 0x5f7ffffc, v2
	v_mul_f32_e32 v5, 0x2f800000, v2
	v_trunc_f32_e32 v5, v5
	v_mac_f32_e32 v2, 0xcf800000, v5
	v_cvt_u32_f32_e32 v5, v5
	v_cvt_u32_f32_e32 v2, v2
	v_mul_lo_u32 v6, s0, v5
	v_mul_hi_u32 v7, s0, v2
	v_mul_lo_u32 v9, s1, v2
	v_mul_lo_u32 v8, s0, v2
	v_add_u32_e32 v6, v7, v6
	v_add_u32_e32 v6, v6, v9
	v_mul_hi_u32 v7, v2, v8
	v_mul_lo_u32 v9, v2, v6
	v_mul_hi_u32 v11, v2, v6
	v_mul_hi_u32 v10, v5, v8
	v_mul_lo_u32 v8, v5, v8
	v_mul_hi_u32 v12, v5, v6
	v_add_co_u32_e32 v7, vcc, v7, v9
	v_addc_co_u32_e32 v9, vcc, 0, v11, vcc
	v_mul_lo_u32 v6, v5, v6
	v_add_co_u32_e32 v7, vcc, v7, v8
	v_addc_co_u32_e32 v7, vcc, v9, v10, vcc
	v_addc_co_u32_e32 v8, vcc, 0, v12, vcc
	v_add_co_u32_e32 v6, vcc, v7, v6
	v_addc_co_u32_e32 v7, vcc, 0, v8, vcc
	v_add_co_u32_e32 v2, vcc, v2, v6
	v_addc_co_u32_e32 v5, vcc, v5, v7, vcc
	v_mul_lo_u32 v6, s0, v5
	v_mul_hi_u32 v7, s0, v2
	v_mul_lo_u32 v8, s1, v2
	v_mul_lo_u32 v9, s0, v2
	v_add_u32_e32 v6, v7, v6
	v_add_u32_e32 v6, v6, v8
	v_mul_lo_u32 v10, v2, v6
	v_mul_hi_u32 v11, v2, v9
	v_mul_hi_u32 v12, v2, v6
	;; [unrolled: 1-line block ×3, first 2 shown]
	v_mul_lo_u32 v9, v5, v9
	v_mul_hi_u32 v7, v5, v6
	v_add_co_u32_e32 v10, vcc, v11, v10
	v_addc_co_u32_e32 v11, vcc, 0, v12, vcc
	v_mul_lo_u32 v6, v5, v6
	v_add_co_u32_e32 v9, vcc, v10, v9
	v_addc_co_u32_e32 v8, vcc, v11, v8, vcc
	v_addc_co_u32_e32 v7, vcc, 0, v7, vcc
	v_add_co_u32_e32 v6, vcc, v8, v6
	v_addc_co_u32_e32 v7, vcc, 0, v7, vcc
	v_add_co_u32_e32 v2, vcc, v2, v6
	v_addc_co_u32_e32 v7, vcc, v5, v7, vcc
	v_mad_u64_u32 v[5:6], s[0:1], v3, v7, 0
	v_mul_hi_u32 v8, v3, v2
	v_add_co_u32_e32 v9, vcc, v8, v5
	v_addc_co_u32_e32 v10, vcc, 0, v6, vcc
	v_mad_u64_u32 v[5:6], s[0:1], v4, v2, 0
	v_mad_u64_u32 v[7:8], s[0:1], v4, v7, 0
	v_add_co_u32_e32 v2, vcc, v9, v5
	v_addc_co_u32_e32 v2, vcc, v10, v6, vcc
	v_addc_co_u32_e32 v5, vcc, 0, v8, vcc
	v_add_co_u32_e32 v2, vcc, v2, v7
	v_addc_co_u32_e32 v7, vcc, 0, v5, vcc
	v_mul_lo_u32 v8, s25, v2
	v_mul_lo_u32 v9, s24, v7
	v_mad_u64_u32 v[5:6], s[0:1], s24, v2, 0
	v_add3_u32 v6, v6, v9, v8
	v_sub_u32_e32 v8, v4, v6
	v_mov_b32_e32 v9, s25
	v_sub_co_u32_e32 v5, vcc, v3, v5
	v_subb_co_u32_e64 v8, s[0:1], v8, v9, vcc
	v_subrev_co_u32_e64 v9, s[0:1], s24, v5
	v_subbrev_co_u32_e64 v8, s[0:1], 0, v8, s[0:1]
	v_cmp_le_u32_e64 s[0:1], s25, v8
	v_cndmask_b32_e64 v10, 0, -1, s[0:1]
	v_cmp_le_u32_e64 s[0:1], s24, v9
	v_cndmask_b32_e64 v9, 0, -1, s[0:1]
	v_cmp_eq_u32_e64 s[0:1], s25, v8
	v_cndmask_b32_e64 v8, v10, v9, s[0:1]
	v_add_co_u32_e64 v9, s[0:1], 2, v2
	v_addc_co_u32_e64 v10, s[0:1], 0, v7, s[0:1]
	v_add_co_u32_e64 v11, s[0:1], 1, v2
	v_addc_co_u32_e64 v12, s[0:1], 0, v7, s[0:1]
	v_subb_co_u32_e32 v6, vcc, v4, v6, vcc
	v_cmp_ne_u32_e64 s[0:1], 0, v8
	v_cmp_le_u32_e32 vcc, s25, v6
	v_cndmask_b32_e64 v8, v12, v10, s[0:1]
	v_cndmask_b32_e64 v10, 0, -1, vcc
	v_cmp_le_u32_e32 vcc, s24, v5
	v_cndmask_b32_e64 v5, 0, -1, vcc
	v_cmp_eq_u32_e32 vcc, s25, v6
	v_cndmask_b32_e32 v5, v10, v5, vcc
	v_cmp_ne_u32_e32 vcc, 0, v5
	v_cndmask_b32_e64 v5, v11, v9, s[0:1]
	v_cndmask_b32_e32 v71, v7, v8, vcc
	v_cndmask_b32_e32 v70, v2, v5, vcc
.LBB0_4:                                ;   in Loop: Header=BB0_2 Depth=1
	s_andn2_saveexec_b64 s[0:1], s[26:27]
	s_cbranch_execz .LBB0_6
; %bb.5:                                ;   in Loop: Header=BB0_2 Depth=1
	v_cvt_f32_u32_e32 v2, s24
	s_sub_i32 s26, 0, s24
	v_mov_b32_e32 v71, v1
	v_rcp_iflag_f32_e32 v2, v2
	v_mul_f32_e32 v2, 0x4f7ffffe, v2
	v_cvt_u32_f32_e32 v2, v2
	v_mul_lo_u32 v5, s26, v2
	v_mul_hi_u32 v5, v2, v5
	v_add_u32_e32 v2, v2, v5
	v_mul_hi_u32 v2, v3, v2
	v_mul_lo_u32 v5, v2, s24
	v_add_u32_e32 v6, 1, v2
	v_sub_u32_e32 v5, v3, v5
	v_subrev_u32_e32 v7, s24, v5
	v_cmp_le_u32_e32 vcc, s24, v5
	v_cndmask_b32_e32 v5, v5, v7, vcc
	v_cndmask_b32_e32 v2, v2, v6, vcc
	v_add_u32_e32 v6, 1, v2
	v_cmp_le_u32_e32 vcc, s24, v5
	v_cndmask_b32_e32 v70, v2, v6, vcc
.LBB0_6:                                ;   in Loop: Header=BB0_2 Depth=1
	s_or_b64 exec, exec, s[0:1]
	v_mul_lo_u32 v2, v71, s24
	v_mul_lo_u32 v7, v70, s25
	v_mad_u64_u32 v[5:6], s[0:1], v70, s24, 0
	s_load_dwordx2 s[0:1], s[6:7], 0x0
	s_load_dwordx2 s[24:25], s[2:3], 0x0
	v_add3_u32 v2, v6, v7, v2
	v_sub_co_u32_e32 v3, vcc, v3, v5
	v_subb_co_u32_e32 v2, vcc, v4, v2, vcc
	s_waitcnt lgkmcnt(0)
	v_mul_lo_u32 v4, s0, v2
	v_mul_lo_u32 v5, s1, v3
	v_mad_u64_u32 v[52:53], s[0:1], s0, v3, v[52:53]
	v_mul_lo_u32 v2, s24, v2
	v_mul_lo_u32 v6, s25, v3
	v_mad_u64_u32 v[68:69], s[0:1], s24, v3, v[68:69]
	s_add_u32 s22, s22, 1
	s_addc_u32 s23, s23, 0
	s_add_u32 s2, s2, 8
	v_add3_u32 v69, v6, v69, v2
	s_addc_u32 s3, s3, 0
	v_mov_b32_e32 v2, s14
	s_add_u32 s6, s6, 8
	v_mov_b32_e32 v3, s15
	s_addc_u32 s7, s7, 0
	v_cmp_ge_u64_e32 vcc, s[22:23], v[2:3]
	s_add_u32 s20, s20, 8
	v_add3_u32 v53, v5, v53, v4
	s_addc_u32 s21, s21, 0
	s_cbranch_vccnz .LBB0_9
; %bb.7:                                ;   in Loop: Header=BB0_2 Depth=1
	v_mov_b32_e32 v3, v70
	v_mov_b32_e32 v4, v71
	s_branch .LBB0_2
.LBB0_8:
	v_mov_b32_e32 v69, v53
	v_mov_b32_e32 v71, v4
	;; [unrolled: 1-line block ×4, first 2 shown]
.LBB0_9:
	s_lshl_b64 s[14:15], s[14:15], 3
	s_load_dwordx2 s[0:1], s[4:5], 0x28
	s_add_u32 s2, s18, s14
	s_mov_b32 s3, 0x13b13b14
	v_mul_hi_u32 v1, v0, s3
	s_addc_u32 s3, s19, s15
	s_load_dwordx2 s[2:3], s[2:3], 0x0
	s_waitcnt lgkmcnt(0)
	v_cmp_gt_u64_e32 vcc, s[0:1], v[70:71]
	v_mul_u32_u24_e32 v1, 13, v1
	v_sub_u32_e32 v73, v0, v1
	v_mov_b32_e32 v72, 0
                                        ; implicit-def: $vgpr46_vgpr47
                                        ; implicit-def: $vgpr42_vgpr43
                                        ; implicit-def: $vgpr34_vgpr35
                                        ; implicit-def: $vgpr30_vgpr31
                                        ; implicit-def: $vgpr14_vgpr15
                                        ; implicit-def: $vgpr6_vgpr7
                                        ; implicit-def: $vgpr2_vgpr3
                                        ; implicit-def: $vgpr10_vgpr11
                                        ; implicit-def: $vgpr18_vgpr19
                                        ; implicit-def: $vgpr26_vgpr27
                                        ; implicit-def: $vgpr38_vgpr39
                                        ; implicit-def: $vgpr50_vgpr51
                                        ; implicit-def: $vgpr22_vgpr23
	s_and_saveexec_b64 s[4:5], vcc
	s_cbranch_execz .LBB0_13
; %bb.10:
	v_cmp_gt_u32_e64 s[0:1], 9, v73
                                        ; implicit-def: $vgpr20_vgpr21
                                        ; implicit-def: $vgpr48_vgpr49
                                        ; implicit-def: $vgpr36_vgpr37
                                        ; implicit-def: $vgpr24_vgpr25
                                        ; implicit-def: $vgpr16_vgpr17
                                        ; implicit-def: $vgpr8_vgpr9
                                        ; implicit-def: $vgpr0_vgpr1
                                        ; implicit-def: $vgpr4_vgpr5
                                        ; implicit-def: $vgpr12_vgpr13
                                        ; implicit-def: $vgpr28_vgpr29
                                        ; implicit-def: $vgpr32_vgpr33
                                        ; implicit-def: $vgpr40_vgpr41
                                        ; implicit-def: $vgpr44_vgpr45
	s_and_saveexec_b64 s[6:7], s[0:1]
	s_cbranch_execz .LBB0_12
; %bb.11:
	s_add_u32 s0, s16, s14
	s_addc_u32 s1, s17, s15
	s_load_dwordx2 s[0:1], s[0:1], 0x0
	v_mov_b32_e32 v4, s9
	v_mov_b32_e32 v74, 0
	s_waitcnt lgkmcnt(0)
	v_mul_lo_u32 v2, s1, v70
	v_mul_lo_u32 v3, s0, v71
	v_mad_u64_u32 v[0:1], s[0:1], s0, v70, 0
	v_add3_u32 v1, v1, v3, v2
	v_lshlrev_b64 v[0:1], 4, v[0:1]
	v_add_co_u32_e64 v2, s[0:1], s8, v0
	v_addc_co_u32_e64 v3, s[0:1], v4, v1, s[0:1]
	v_lshlrev_b64 v[0:1], 4, v[52:53]
	v_add_co_u32_e64 v2, s[0:1], v2, v0
	v_addc_co_u32_e64 v3, s[0:1], v3, v1, s[0:1]
	;; [unrolled: 3-line block ×3, first 2 shown]
	global_load_dwordx4 v[20:23], v[52:53], off
	global_load_dwordx4 v[48:51], v[52:53], off offset:144
	global_load_dwordx4 v[36:39], v[52:53], off offset:288
	;; [unrolled: 1-line block ×12, first 2 shown]
.LBB0_12:
	s_or_b64 exec, exec, s[6:7]
	v_mov_b32_e32 v72, v73
.LBB0_13:
	s_or_b64 exec, exec, s[4:5]
	v_and_b32_e32 v52, 3, v54
	v_mul_u32_u24_e32 v52, 0x75, v52
	v_cmp_gt_u32_e64 s[0:1], 9, v73
	v_lshlrev_b32_e32 v102, 3, v52
	s_and_saveexec_b64 s[4:5], s[0:1]
	s_cbranch_execz .LBB0_15
; %bb.14:
	s_waitcnt vmcnt(0)
	v_add_f64 v[96:97], v[50:51], -v[46:47]
	s_mov_b32 s30, 0x4bc48dbf
	s_mov_b32 s31, 0xbfcea1e5
	v_add_f64 v[94:95], v[38:39], -v[42:43]
	v_add_f64 v[88:89], v[44:45], v[48:49]
	s_mov_b32 s28, 0x93053d00
	s_mov_b32 s23, 0x3fddbe06
	;; [unrolled: 1-line block ×3, first 2 shown]
	v_mul_f64 v[103:104], v[96:97], s[30:31]
	s_mov_b32 s29, 0xbfef11f4
	v_add_f64 v[92:93], v[26:27], -v[34:35]
	v_add_f64 v[84:85], v[40:41], v[36:37]
	v_mul_f64 v[98:99], v[94:95], s[22:23]
	s_mov_b32 s24, 0x24c2f84
	s_mov_b32 s20, 0xe00740e9
	;; [unrolled: 1-line block ×3, first 2 shown]
	v_fma_f64 v[105:106], v[88:89], s[28:29], v[103:104]
	s_mov_b32 s21, 0x3fec55a7
	v_add_f64 v[90:91], v[18:19], -v[30:31]
	v_add_f64 v[82:83], v[32:33], v[24:25]
	v_mul_f64 v[64:65], v[92:93], s[24:25]
	v_fma_f64 v[100:101], v[84:85], s[20:21], v[98:99]
	s_mov_b32 s36, 0x42a4c3d2
	s_mov_b32 s16, 0xd0032e0c
	v_add_f64 v[105:106], v[20:21], v[105:106]
	s_mov_b32 s37, 0x3fea55e2
	s_mov_b32 s17, 0xbfe7f3cc
	v_add_f64 v[86:87], v[10:11], -v[14:15]
	v_add_f64 v[80:81], v[28:29], v[16:17]
	v_mul_f64 v[60:61], v[90:91], s[36:37]
	v_fma_f64 v[74:75], v[82:83], s[16:17], v[64:65]
	s_mov_b32 s18, 0x2ef20147
	v_add_f64 v[100:101], v[100:101], v[105:106]
	s_mov_b32 s14, 0x1ea71119
	s_mov_b32 s19, 0xbfedeba7
	;; [unrolled: 1-line block ×3, first 2 shown]
	v_add_f64 v[66:67], v[2:3], -v[6:7]
	v_add_f64 v[78:79], v[12:13], v[8:9]
	v_mul_f64 v[56:57], v[86:87], s[18:19]
	v_fma_f64 v[62:63], v[80:81], s[14:15], v[60:61]
	v_add_f64 v[74:75], v[74:75], v[100:101]
	s_mov_b32 s26, 0x66966769
	s_mov_b32 s8, 0xb2365da1
	;; [unrolled: 1-line block ×4, first 2 shown]
	v_add_f64 v[76:77], v[4:5], v[0:1]
	v_mul_f64 v[54:55], v[66:67], s[26:27]
	v_fma_f64 v[58:59], v[78:79], s[8:9], v[56:57]
	v_add_f64 v[62:63], v[62:63], v[74:75]
	s_mov_b32 s6, 0xebaa3ed8
	s_mov_b32 s7, 0x3fbedb7d
	v_mul_f64 v[107:108], v[96:97], s[24:25]
	s_mov_b32 s35, 0xbfea55e2
	s_mov_b32 s34, s36
	v_fma_f64 v[52:53], v[76:77], s[6:7], v[54:55]
	s_mov_b32 s39, 0x3fcea1e5
	v_add_f64 v[58:59], v[58:59], v[62:63]
	v_fma_f64 v[62:63], v[84:85], s[20:21], -v[98:99]
	v_mul_f64 v[98:99], v[92:93], s[34:35]
	v_fma_f64 v[109:110], v[88:89], s[16:17], v[107:108]
	s_mov_b32 s38, s30
	v_fma_f64 v[56:57], v[78:79], s[8:9], -v[56:57]
	v_fma_f64 v[54:55], v[76:77], s[6:7], -v[54:55]
	v_mul_f64 v[111:112], v[96:97], s[18:19]
	v_add_f64 v[52:53], v[52:53], v[58:59]
	v_fma_f64 v[58:59], v[80:81], s[14:15], -v[60:61]
	v_fma_f64 v[60:61], v[82:83], s[16:17], -v[64:65]
	;; [unrolled: 1-line block ×3, first 2 shown]
	v_mul_f64 v[103:104], v[94:95], s[26:27]
	v_add_f64 v[109:110], v[20:21], v[109:110]
	v_fma_f64 v[100:101], v[82:83], s[14:15], v[98:99]
	v_fma_f64 v[113:114], v[88:89], s[8:9], v[111:112]
	s_mov_b32 s41, 0x3fedeba7
	s_mov_b32 s40, s18
	v_mul_f64 v[119:120], v[96:97], s[34:35]
	v_add_f64 v[64:65], v[20:21], v[64:65]
	v_fma_f64 v[105:106], v[84:85], s[6:7], v[103:104]
	v_add_f64 v[113:114], v[20:21], v[113:114]
	v_fma_f64 v[121:122], v[88:89], s[14:15], v[119:120]
	v_add_f64 v[62:63], v[62:63], v[64:65]
	v_mul_f64 v[64:65], v[90:91], s[38:39]
	v_add_f64 v[105:106], v[105:106], v[109:110]
	v_add_f64 v[121:122], v[20:21], v[121:122]
	;; [unrolled: 1-line block ×3, first 2 shown]
	v_fma_f64 v[74:75], v[80:81], s[28:29], v[64:65]
	v_add_f64 v[100:101], v[100:101], v[105:106]
	v_add_f64 v[58:59], v[58:59], v[60:61]
	v_mul_f64 v[60:61], v[86:87], s[22:23]
	v_add_f64 v[74:75], v[74:75], v[100:101]
	v_add_f64 v[56:57], v[56:57], v[58:59]
	v_mul_f64 v[58:59], v[66:67], s[18:19]
	v_fma_f64 v[62:63], v[78:79], s[20:21], v[60:61]
	v_fma_f64 v[60:61], v[78:79], s[20:21], -v[60:61]
	v_add_f64 v[54:55], v[54:55], v[56:57]
	v_fma_f64 v[56:57], v[76:77], s[8:9], v[58:59]
	v_add_f64 v[62:63], v[62:63], v[74:75]
	v_fma_f64 v[74:75], v[84:85], s[6:7], -v[103:104]
	v_mul_f64 v[103:104], v[92:93], s[22:23]
	v_fma_f64 v[58:59], v[76:77], s[8:9], -v[58:59]
	v_add_f64 v[56:57], v[56:57], v[62:63]
	v_fma_f64 v[62:63], v[80:81], s[28:29], -v[64:65]
	v_fma_f64 v[64:65], v[82:83], s[14:15], -v[98:99]
	;; [unrolled: 1-line block ×3, first 2 shown]
	v_fma_f64 v[105:106], v[82:83], s[20:21], v[103:104]
	v_add_f64 v[98:99], v[20:21], v[98:99]
	v_add_f64 v[74:75], v[74:75], v[98:99]
	;; [unrolled: 1-line block ×4, first 2 shown]
	v_mul_f64 v[64:65], v[86:87], s[38:39]
	s_mov_b32 s39, 0x3fe5384d
	s_mov_b32 s38, s24
	v_mul_f64 v[107:108], v[94:95], s[38:39]
	v_add_f64 v[60:61], v[60:61], v[62:63]
	v_mul_f64 v[62:63], v[66:67], s[36:37]
	s_mov_b32 s37, 0xbfefc445
	s_mov_b32 s36, s26
	v_fma_f64 v[109:110], v[84:85], s[16:17], v[107:108]
	v_mul_f64 v[98:99], v[90:91], s[36:37]
	v_fma_f64 v[74:75], v[78:79], s[28:29], v[64:65]
	v_mul_f64 v[115:116], v[96:97], s[36:37]
	v_add_f64 v[60:61], v[58:59], v[60:61]
	v_fma_f64 v[58:59], v[76:77], s[14:15], v[62:63]
	v_fma_f64 v[64:65], v[78:79], s[28:29], -v[64:65]
	v_fma_f64 v[62:63], v[76:77], s[14:15], -v[62:63]
	v_add_f64 v[109:110], v[109:110], v[113:114]
	v_fma_f64 v[100:101], v[80:81], s[6:7], v[98:99]
	v_fma_f64 v[117:118], v[88:89], s[6:7], v[115:116]
	v_add_f64 v[105:106], v[105:106], v[109:110]
	v_add_f64 v[117:118], v[20:21], v[117:118]
	;; [unrolled: 1-line block ×4, first 2 shown]
	v_fma_f64 v[100:101], v[84:85], s[16:17], -v[107:108]
	v_mul_f64 v[107:108], v[92:93], s[40:41]
	v_add_f64 v[58:59], v[58:59], v[74:75]
	v_fma_f64 v[74:75], v[80:81], s[6:7], -v[98:99]
	v_fma_f64 v[98:99], v[82:83], s[20:21], -v[103:104]
	;; [unrolled: 1-line block ×3, first 2 shown]
	v_mul_f64 v[111:112], v[94:95], s[30:31]
	v_fma_f64 v[109:110], v[82:83], s[8:9], v[107:108]
	v_add_f64 v[103:104], v[20:21], v[103:104]
	v_fma_f64 v[113:114], v[84:85], s[28:29], v[111:112]
	v_add_f64 v[100:101], v[100:101], v[103:104]
	v_mul_f64 v[103:104], v[90:91], s[22:23]
	v_add_f64 v[113:114], v[113:114], v[117:118]
	v_add_f64 v[98:99], v[98:99], v[100:101]
	v_fma_f64 v[105:106], v[80:81], s[20:21], v[103:104]
	v_add_f64 v[109:110], v[109:110], v[113:114]
	v_add_f64 v[74:75], v[74:75], v[98:99]
	v_mul_f64 v[98:99], v[86:87], s[34:35]
	v_add_f64 v[105:106], v[105:106], v[109:110]
	v_add_f64 v[64:65], v[64:65], v[74:75]
	v_fma_f64 v[100:101], v[78:79], s[14:15], v[98:99]
	v_fma_f64 v[98:99], v[78:79], s[14:15], -v[98:99]
	v_add_f64 v[74:75], v[62:63], v[64:65]
	v_mul_f64 v[64:65], v[66:67], s[24:25]
	v_add_f64 v[100:101], v[100:101], v[105:106]
	v_fma_f64 v[105:106], v[84:85], s[28:29], -v[111:112]
	v_mul_f64 v[111:112], v[92:93], s[30:31]
	v_mul_f64 v[92:93], v[92:93], s[36:37]
	v_fma_f64 v[62:63], v[76:77], s[16:17], v[64:65]
	v_fma_f64 v[64:65], v[76:77], s[16:17], -v[64:65]
	v_fma_f64 v[113:114], v[82:83], s[28:29], v[111:112]
	v_add_f64 v[62:63], v[62:63], v[100:101]
	v_fma_f64 v[100:101], v[80:81], s[20:21], -v[103:104]
	v_fma_f64 v[103:104], v[82:83], s[8:9], -v[107:108]
	;; [unrolled: 1-line block ×3, first 2 shown]
	v_mul_f64 v[115:116], v[94:95], s[18:19]
	v_mul_f64 v[94:95], v[94:95], s[34:35]
	v_add_f64 v[107:108], v[20:21], v[107:108]
	v_fma_f64 v[117:118], v[84:85], s[8:9], v[115:116]
	v_add_f64 v[105:106], v[105:106], v[107:108]
	v_mul_f64 v[107:108], v[90:91], s[38:39]
	v_add_f64 v[117:118], v[117:118], v[121:122]
	v_mul_f64 v[90:91], v[90:91], s[18:19]
	v_add_f64 v[103:104], v[103:104], v[105:106]
	v_fma_f64 v[109:110], v[80:81], s[16:17], v[107:108]
	v_add_f64 v[113:114], v[113:114], v[117:118]
	v_add_f64 v[100:101], v[100:101], v[103:104]
	v_mul_f64 v[103:104], v[86:87], s[26:27]
	v_add_f64 v[109:110], v[109:110], v[113:114]
	v_mul_f64 v[86:87], v[86:87], s[24:25]
	;; [unrolled: 2-line block ×3, first 2 shown]
	v_fma_f64 v[105:106], v[78:79], s[6:7], v[103:104]
	s_mov_b32 s23, 0xbfddbe06
	v_fma_f64 v[103:104], v[78:79], s[6:7], -v[103:104]
	v_mul_f64 v[96:97], v[96:97], s[22:23]
	v_add_f64 v[98:99], v[64:65], v[98:99]
	v_fma_f64 v[64:65], v[76:77], s[20:21], v[100:101]
	v_add_f64 v[105:106], v[105:106], v[109:110]
	v_fma_f64 v[109:110], v[84:85], s[8:9], -v[115:116]
	v_fma_f64 v[100:101], v[76:77], s[20:21], -v[100:101]
	v_fma_f64 v[113:114], v[88:89], s[20:21], v[96:97]
	v_add_f64 v[64:65], v[64:65], v[105:106]
	v_fma_f64 v[105:106], v[80:81], s[16:17], -v[107:108]
	v_fma_f64 v[107:108], v[82:83], s[28:29], -v[111:112]
	;; [unrolled: 1-line block ×3, first 2 shown]
	v_add_f64 v[113:114], v[20:21], v[113:114]
	v_add_f64 v[111:112], v[20:21], v[111:112]
	;; [unrolled: 1-line block ×3, first 2 shown]
	v_fma_f64 v[111:112], v[84:85], s[14:15], v[94:95]
	v_fma_f64 v[84:85], v[84:85], s[14:15], -v[94:95]
	v_add_f64 v[107:108], v[107:108], v[109:110]
	v_fma_f64 v[109:110], v[82:83], s[6:7], v[92:93]
	v_fma_f64 v[82:83], v[82:83], s[6:7], -v[92:93]
	v_add_f64 v[111:112], v[111:112], v[113:114]
	v_add_f64 v[105:106], v[105:106], v[107:108]
	v_fma_f64 v[107:108], v[80:81], s[8:9], v[90:91]
	v_fma_f64 v[80:81], v[80:81], s[8:9], -v[90:91]
	v_add_f64 v[109:110], v[109:110], v[111:112]
	v_add_f64 v[103:104], v[103:104], v[105:106]
	v_fma_f64 v[105:106], v[78:79], s[16:17], v[86:87]
	v_fma_f64 v[78:79], v[78:79], s[16:17], -v[86:87]
	v_fma_f64 v[86:87], v[88:89], s[20:21], -v[96:97]
	v_add_f64 v[107:108], v[107:108], v[109:110]
	v_add_f64 v[100:101], v[100:101], v[103:104]
	v_mul_f64 v[103:104], v[66:67], s[30:31]
	v_add_f64 v[86:87], v[20:21], v[86:87]
	v_add_f64 v[20:21], v[48:49], v[20:21]
	;; [unrolled: 1-line block ×3, first 2 shown]
	v_fma_f64 v[66:67], v[76:77], s[28:29], v[103:104]
	v_fma_f64 v[76:77], v[76:77], s[28:29], -v[103:104]
	v_add_f64 v[84:85], v[84:85], v[86:87]
	v_add_f64 v[20:21], v[36:37], v[20:21]
	;; [unrolled: 1-line block ×11, first 2 shown]
	v_mul_u32_u24_e32 v78, 0x68, v73
	v_add3_u32 v78, 0, v78, v102
	v_add_f64 v[20:21], v[4:5], v[20:21]
	v_add_f64 v[20:21], v[12:13], v[20:21]
	;; [unrolled: 1-line block ×6, first 2 shown]
	ds_write2_b64 v78, v[20:21], v[76:77] offset1:1
	ds_write2_b64 v78, v[100:101], v[98:99] offset0:2 offset1:3
	ds_write2_b64 v78, v[74:75], v[60:61] offset0:4 offset1:5
	;; [unrolled: 1-line block ×5, first 2 shown]
	ds_write_b64 v78, v[66:67] offset:96
.LBB0_15:
	s_or_b64 exec, exec, s[4:5]
	s_waitcnt vmcnt(12)
	v_lshlrev_b32_e32 v20, 3, v73
	v_add_u32_e32 v21, 0, v20
	v_add3_u32 v76, 0, v102, v20
	v_add_u32_e32 v77, v21, v102
	s_waitcnt lgkmcnt(0)
	; wave barrier
	s_waitcnt lgkmcnt(0)
	ds_read_b64 v[74:75], v76
	ds_read2_b64 v[52:55], v77 offset0:13 offset1:26
	ds_read2_b64 v[60:63], v77 offset0:39 offset1:52
	;; [unrolled: 1-line block ×4, first 2 shown]
	s_waitcnt lgkmcnt(0)
	; wave barrier
	s_waitcnt lgkmcnt(0)
	s_and_saveexec_b64 s[4:5], s[0:1]
	s_cbranch_execz .LBB0_17
; %bb.16:
	s_waitcnt vmcnt(11)
	v_add_f64 v[78:79], v[50:51], v[22:23]
	s_waitcnt vmcnt(0)
	v_add_f64 v[44:45], v[48:49], -v[44:45]
	v_add_f64 v[36:37], v[36:37], -v[40:41]
	s_mov_b32 s24, 0x42a4c3d2
	s_mov_b32 s25, 0xbfea55e2
	v_add_f64 v[50:51], v[46:47], v[50:51]
	s_mov_b32 s0, 0x1ea71119
	s_mov_b32 s34, 0x66966769
	v_add_f64 v[48:49], v[38:39], v[78:79]
	v_mul_f64 v[78:79], v[44:45], s[24:25]
	s_mov_b32 s20, 0x2ef20147
	s_mov_b32 s22, 0x24c2f84
	;; [unrolled: 1-line block ×6, first 2 shown]
	v_add_f64 v[48:49], v[26:27], v[48:49]
	s_mov_b32 s21, 0xbfedeba7
	s_mov_b32 s23, 0xbfe5384d
	v_add_f64 v[38:39], v[42:43], v[38:39]
	v_mul_f64 v[80:81], v[44:45], s[34:35]
	v_mul_f64 v[82:83], v[44:45], s[20:21]
	;; [unrolled: 1-line block ×4, first 2 shown]
	v_add_f64 v[48:49], v[18:19], v[48:49]
	v_fma_f64 v[98:99], v[50:51], s[0:1], v[78:79]
	v_fma_f64 v[78:79], v[50:51], s[0:1], -v[78:79]
	s_mov_b32 s8, 0xe00740e9
	s_mov_b32 s6, 0xebaa3ed8
	;; [unrolled: 1-line block ×5, first 2 shown]
	v_add_f64 v[40:41], v[10:11], v[48:49]
	v_mul_f64 v[48:49], v[44:45], s[16:17]
	s_mov_b32 s9, 0x3fec55a7
	s_mov_b32 s7, 0x3fbedb7d
	;; [unrolled: 1-line block ×6, first 2 shown]
	v_add_f64 v[40:41], v[2:3], v[40:41]
	s_mov_b32 s27, 0x3fefc445
	s_mov_b32 s36, s22
	;; [unrolled: 1-line block ×3, first 2 shown]
	v_mul_f64 v[44:45], v[44:45], s[30:31]
	v_mul_f64 v[86:87], v[36:37], s[24:25]
	;; [unrolled: 1-line block ×4, first 2 shown]
	v_add_f64 v[40:41], v[6:7], v[40:41]
	v_mul_f64 v[94:95], v[36:37], s[26:27]
	v_fma_f64 v[96:97], v[50:51], s[8:9], v[48:49]
	v_fma_f64 v[48:49], v[50:51], s[8:9], -v[48:49]
	v_fma_f64 v[100:101], v[50:51], s[6:7], v[80:81]
	v_fma_f64 v[80:81], v[50:51], s[6:7], -v[80:81]
	;; [unrolled: 2-line block ×3, first 2 shown]
	v_add_f64 v[40:41], v[14:15], v[40:41]
	v_fma_f64 v[105:106], v[50:51], s[18:19], v[84:85]
	v_fma_f64 v[109:110], v[38:39], s[14:15], v[88:89]
	v_fma_f64 v[88:89], v[38:39], s[14:15], -v[88:89]
	v_add_f64 v[78:79], v[22:23], v[78:79]
	v_add_f64 v[24:25], v[24:25], -v[32:33]
	s_mov_b32 s28, 0x93053d00
	s_mov_b32 s29, 0xbfef11f4
	v_add_f64 v[40:41], v[30:31], v[40:41]
	s_mov_b32 s17, 0x3fddbe06
	v_fma_f64 v[84:85], v[50:51], s[18:19], -v[84:85]
	v_fma_f64 v[107:108], v[50:51], s[28:29], v[44:45]
	v_fma_f64 v[44:45], v[50:51], s[28:29], -v[44:45]
	v_fma_f64 v[50:51], v[38:39], s[0:1], v[86:87]
	;; [unrolled: 2-line block ×3, first 2 shown]
	v_add_f64 v[40:41], v[34:35], v[40:41]
	v_add_f64 v[48:49], v[22:23], v[48:49]
	;; [unrolled: 1-line block ×7, first 2 shown]
	v_fma_f64 v[88:89], v[38:39], s[18:19], v[92:93]
	v_add_f64 v[40:41], v[42:43], v[40:41]
	v_mul_f64 v[32:33], v[36:37], s[16:17]
	v_add_f64 v[26:27], v[34:35], v[26:27]
	v_mul_f64 v[34:35], v[24:25], s[34:35]
	s_mov_b32 s39, 0x3fedeba7
	s_mov_b32 s38, s20
	v_add_f64 v[96:97], v[22:23], v[96:97]
	v_add_f64 v[98:99], v[22:23], v[98:99]
	;; [unrolled: 1-line block ×3, first 2 shown]
	v_fma_f64 v[46:47], v[38:39], s[28:29], -v[90:91]
	v_fma_f64 v[90:91], v[38:39], s[18:19], -v[92:93]
	v_fma_f64 v[92:93], v[38:39], s[6:7], v[94:95]
	v_add_f64 v[100:101], v[22:23], v[100:101]
	v_add_f64 v[84:85], v[22:23], v[84:85]
	;; [unrolled: 1-line block ×5, first 2 shown]
	v_fma_f64 v[94:95], v[38:39], s[6:7], -v[94:95]
	v_add_f64 v[36:37], v[46:47], v[80:81]
	v_add_f64 v[46:47], v[88:89], v[103:104]
	;; [unrolled: 1-line block ×4, first 2 shown]
	v_fma_f64 v[88:89], v[38:39], s[8:9], v[32:33]
	v_fma_f64 v[32:33], v[38:39], s[8:9], -v[32:33]
	v_mul_f64 v[90:91], v[24:25], s[38:39]
	v_fma_f64 v[92:93], v[26:27], s[6:7], v[34:35]
	v_fma_f64 v[34:35], v[26:27], s[6:7], -v[34:35]
	v_add_f64 v[44:45], v[50:51], v[96:97]
	v_add_f64 v[84:85], v[94:95], v[84:85]
	v_mul_f64 v[38:39], v[24:25], s[30:31]
	v_add_f64 v[16:17], v[16:17], -v[28:29]
	v_add_f64 v[22:23], v[32:33], v[22:23]
	v_mul_f64 v[32:33], v[24:25], s[16:17]
	v_fma_f64 v[94:95], v[26:27], s[14:15], v[90:91]
	v_add_f64 v[34:35], v[34:35], v[48:49]
	v_fma_f64 v[48:49], v[26:27], s[14:15], -v[90:91]
	v_mul_f64 v[90:91], v[24:25], s[24:25]
	v_add_f64 v[44:45], v[92:93], v[44:45]
	v_add_f64 v[50:51], v[109:110], v[98:99]
	;; [unrolled: 1-line block ×3, first 2 shown]
	v_fma_f64 v[92:93], v[26:27], s[8:9], v[32:33]
	v_fma_f64 v[28:29], v[26:27], s[8:9], -v[32:33]
	v_add_f64 v[42:43], v[88:89], v[42:43]
	v_add_f64 v[32:33], v[48:49], v[36:37]
	v_fma_f64 v[36:37], v[26:27], s[0:1], v[90:91]
	v_fma_f64 v[88:89], v[26:27], s[28:29], v[38:39]
	v_fma_f64 v[38:39], v[26:27], s[28:29], -v[38:39]
	v_mul_f64 v[24:25], v[24:25], s[22:23]
	v_fma_f64 v[48:49], v[26:27], s[0:1], -v[90:91]
	v_add_f64 v[18:19], v[30:31], v[18:19]
	v_mul_f64 v[30:31], v[16:17], s[20:21]
	v_add_f64 v[28:29], v[28:29], v[80:81]
	v_mul_f64 v[80:81], v[16:17], s[36:37]
	;; [unrolled: 2-line block ×3, first 2 shown]
	v_add_f64 v[50:51], v[88:89], v[50:51]
	v_add_f64 v[38:39], v[38:39], v[78:79]
	;; [unrolled: 1-line block ×3, first 2 shown]
	v_fma_f64 v[86:87], v[26:27], s[18:19], v[24:25]
	v_add_f64 v[48:49], v[48:49], v[84:85]
	v_fma_f64 v[24:25], v[26:27], s[18:19], -v[24:25]
	v_fma_f64 v[26:27], v[18:19], s[14:15], v[30:31]
	v_fma_f64 v[30:31], v[18:19], s[14:15], -v[30:31]
	v_fma_f64 v[84:85], v[18:19], s[18:19], v[80:81]
	;; [unrolled: 2-line block ×3, first 2 shown]
	s_mov_b32 s37, 0x3fcea1e5
	s_mov_b32 s36, s30
	v_add_f64 v[42:43], v[86:87], v[42:43]
	v_mul_f64 v[86:87], v[16:17], s[34:35]
	v_add_f64 v[22:23], v[24:25], v[22:23]
	v_add_f64 v[24:25], v[26:27], v[44:45]
	;; [unrolled: 1-line block ×5, first 2 shown]
	v_fma_f64 v[44:45], v[18:19], s[8:9], -v[82:83]
	v_mul_f64 v[78:79], v[16:17], s[36:37]
	v_add_f64 v[8:9], v[8:9], -v[12:13]
	s_mov_b32 s35, 0x3fea55e2
	s_mov_b32 s34, s24
	v_add_f64 v[46:47], v[92:93], v[46:47]
	v_add_f64 v[30:31], v[84:85], v[50:51]
	v_fma_f64 v[50:51], v[18:19], s[6:7], v[86:87]
	v_mul_f64 v[12:13], v[16:17], s[34:35]
	v_add_f64 v[16:17], v[44:45], v[32:33]
	v_fma_f64 v[44:45], v[18:19], s[28:29], v[78:79]
	v_add_f64 v[10:11], v[14:15], v[10:11]
	v_mul_f64 v[14:15], v[8:9], s[22:23]
	v_fma_f64 v[80:81], v[18:19], s[6:7], -v[86:87]
	v_add_f64 v[0:1], v[0:1], -v[4:5]
	v_add_f64 v[32:33], v[50:51], v[46:47]
	v_fma_f64 v[46:47], v[18:19], s[28:29], -v[78:79]
	v_fma_f64 v[50:51], v[18:19], s[0:1], v[12:13]
	v_fma_f64 v[12:13], v[18:19], s[0:1], -v[12:13]
	v_add_f64 v[18:19], v[44:45], v[36:37]
	v_mul_f64 v[36:37], v[8:9], s[24:25]
	v_fma_f64 v[44:45], v[10:11], s[18:19], v[14:15]
	v_fma_f64 v[14:15], v[10:11], s[18:19], -v[14:15]
	v_mul_f64 v[78:79], v[8:9], s[26:27]
	v_mul_f64 v[4:5], v[8:9], s[20:21]
	v_add_f64 v[42:43], v[50:51], v[42:43]
	v_add_f64 v[12:13], v[12:13], v[22:23]
	;; [unrolled: 1-line block ×3, first 2 shown]
	v_fma_f64 v[50:51], v[10:11], s[0:1], v[36:37]
	v_add_f64 v[24:25], v[44:45], v[24:25]
	v_add_f64 v[14:15], v[14:15], v[26:27]
	v_fma_f64 v[26:27], v[10:11], s[0:1], -v[36:37]
	v_mul_f64 v[36:37], v[8:9], s[36:37]
	v_fma_f64 v[22:23], v[10:11], s[6:7], -v[78:79]
	v_mul_f64 v[44:45], v[8:9], s[16:17]
	v_mul_f64 v[6:7], v[0:1], s[30:31]
	v_add_f64 v[28:29], v[80:81], v[28:29]
	v_add_f64 v[46:47], v[46:47], v[48:49]
	v_fma_f64 v[48:49], v[10:11], s[6:7], v[78:79]
	v_add_f64 v[8:9], v[26:27], v[16:17]
	v_fma_f64 v[16:17], v[10:11], s[28:29], v[36:37]
	v_add_f64 v[22:23], v[22:23], v[34:35]
	v_add_f64 v[34:35], v[50:51], v[38:39]
	v_fma_f64 v[26:27], v[10:11], s[28:29], -v[36:37]
	v_fma_f64 v[36:37], v[10:11], s[8:9], v[44:45]
	v_fma_f64 v[38:39], v[10:11], s[8:9], -v[44:45]
	v_fma_f64 v[44:45], v[10:11], s[14:15], v[4:5]
	v_fma_f64 v[4:5], v[10:11], s[14:15], -v[4:5]
	v_add_f64 v[10:11], v[16:17], v[32:33]
	v_mul_f64 v[16:17], v[0:1], s[16:17]
	v_fma_f64 v[32:33], v[2:3], s[28:29], v[6:7]
	v_add_f64 v[26:27], v[26:27], v[28:29]
	v_fma_f64 v[6:7], v[2:3], s[28:29], -v[6:7]
	v_add_f64 v[28:29], v[38:39], v[46:47]
	v_mul_f64 v[38:39], v[0:1], s[22:23]
	v_add_f64 v[4:5], v[4:5], v[12:13]
	v_add_f64 v[30:31], v[48:49], v[30:31]
	v_fma_f64 v[12:13], v[2:3], s[8:9], v[16:17]
	v_fma_f64 v[16:17], v[2:3], s[8:9], -v[16:17]
	v_add_f64 v[18:19], v[36:37], v[18:19]
	v_add_f64 v[36:37], v[44:45], v[42:43]
	v_mul_f64 v[42:43], v[0:1], s[34:35]
	v_add_f64 v[24:25], v[32:33], v[24:25]
	v_mul_f64 v[32:33], v[0:1], s[20:21]
	v_mul_f64 v[0:1], v[0:1], s[26:27]
	v_add_f64 v[6:7], v[6:7], v[14:15]
	v_add_f64 v[14:15], v[16:17], v[22:23]
	v_fma_f64 v[16:17], v[2:3], s[18:19], v[38:39]
	v_add_f64 v[12:13], v[12:13], v[30:31]
	v_fma_f64 v[22:23], v[2:3], s[0:1], v[42:43]
	v_fma_f64 v[30:31], v[2:3], s[0:1], -v[42:43]
	v_fma_f64 v[42:43], v[2:3], s[14:15], v[32:33]
	v_fma_f64 v[44:45], v[2:3], s[6:7], v[0:1]
	v_fma_f64 v[0:1], v[2:3], s[6:7], -v[0:1]
	v_fma_f64 v[32:33], v[2:3], s[14:15], -v[32:33]
	;; [unrolled: 1-line block ×3, first 2 shown]
	v_add_f64 v[16:17], v[16:17], v[34:35]
	v_add_f64 v[10:11], v[22:23], v[10:11]
	v_add_f64 v[22:23], v[30:31], v[26:27]
	v_add_f64 v[18:19], v[42:43], v[18:19]
	v_add_f64 v[26:27], v[44:45], v[36:37]
	v_add_f64 v[0:1], v[0:1], v[4:5]
	v_add_f64 v[4:5], v[32:33], v[28:29]
	v_add_f64 v[2:3], v[2:3], v[8:9]
	v_mul_u32_u24_e32 v8, 0x60, v73
	v_add3_u32 v8, v21, v8, v102
	ds_write2_b64 v8, v[40:41], v[24:25] offset1:1
	ds_write2_b64 v8, v[12:13], v[16:17] offset0:2 offset1:3
	ds_write2_b64 v8, v[10:11], v[18:19] offset0:4 offset1:5
	;; [unrolled: 1-line block ×5, first 2 shown]
	ds_write_b64 v8, v[6:7] offset:96
.LBB0_17:
	s_or_b64 exec, exec, s[4:5]
	s_waitcnt lgkmcnt(0)
	; wave barrier
	s_waitcnt lgkmcnt(0)
	s_and_saveexec_b64 s[0:1], vcc
	s_cbranch_execz .LBB0_19
; %bb.18:
	v_mov_b32_e32 v21, 0
	s_waitcnt vmcnt(6)
	v_lshlrev_b64 v[0:1], 4, v[20:21]
	v_mov_b32_e32 v2, s13
	s_waitcnt vmcnt(2)
	v_add_co_u32_e32 v34, vcc, s12, v0
	v_addc_co_u32_e32 v35, vcc, v2, v1, vcc
	global_load_dwordx4 v[0:3], v[34:35], off offset:32
	global_load_dwordx4 v[4:7], v[34:35], off offset:80
	;; [unrolled: 1-line block ×6, first 2 shown]
	global_load_dwordx4 v[26:29], v[34:35], off
	global_load_dwordx4 v[30:33], v[34:35], off offset:112
	ds_read2_b64 v[34:37], v77 offset0:39 offset1:52
	s_waitcnt vmcnt(9)
	ds_read2_b64 v[38:41], v77 offset0:65 offset1:78
	s_waitcnt vmcnt(8)
	ds_read2_b64 v[42:45], v77 offset0:13 offset1:26
	ds_read2_b64 v[46:49], v77 offset0:91 offset1:104
	v_mul_lo_u32 v20, s3, v70
	v_mul_lo_u32 v73, s2, v71
	v_mad_u64_u32 v[50:51], s[0:1], s2, v70, 0
	ds_read_b64 v[70:71], v76
	s_mov_b32 s2, 0x8c811c17
	s_mov_b32 s14, 0xa2cf5039
	;; [unrolled: 1-line block ×16, first 2 shown]
	v_add3_u32 v51, v51, v73, v20
	v_mov_b32_e32 v73, v21
	v_lshlrev_b64 v[20:21], 4, v[50:51]
	s_waitcnt vmcnt(7) lgkmcnt(4)
	v_mul_f64 v[76:77], v[34:35], v[2:3]
	s_waitcnt vmcnt(6) lgkmcnt(3)
	v_mul_f64 v[78:79], v[40:41], v[6:7]
	;; [unrolled: 2-line block ×4, first 2 shown]
	s_waitcnt vmcnt(3)
	v_mul_f64 v[84:85], v[36:37], v[18:19]
	s_waitcnt vmcnt(2)
	v_mul_f64 v[86:87], v[38:39], v[24:25]
	v_mul_f64 v[18:19], v[62:63], v[18:19]
	;; [unrolled: 1-line block ×5, first 2 shown]
	s_waitcnt vmcnt(1)
	v_mul_f64 v[88:89], v[42:43], v[28:29]
	s_waitcnt vmcnt(0)
	v_mul_f64 v[90:91], v[48:49], v[32:33]
	v_mul_f64 v[2:3], v[60:61], v[2:3]
	;; [unrolled: 1-line block ×5, first 2 shown]
	v_fma_f64 v[54:55], v[54:55], v[8:9], -v[80:81]
	v_fma_f64 v[56:57], v[56:57], v[12:13], -v[82:83]
	;; [unrolled: 1-line block ×4, first 2 shown]
	v_fma_f64 v[16:17], v[16:17], v[36:37], v[18:19]
	v_fma_f64 v[18:19], v[22:23], v[38:39], v[24:25]
	v_fma_f64 v[8:9], v[8:9], v[44:45], v[10:11]
	v_fma_f64 v[10:11], v[12:13], v[46:47], v[14:15]
	v_fma_f64 v[60:61], v[60:61], v[0:1], -v[76:77]
	v_fma_f64 v[66:67], v[66:67], v[4:5], -v[78:79]
	v_fma_f64 v[0:1], v[0:1], v[34:35], v[2:3]
	v_fma_f64 v[2:3], v[4:5], v[40:41], v[6:7]
	v_fma_f64 v[4:5], v[26:27], v[42:43], v[28:29]
	v_fma_f64 v[6:7], v[30:31], v[48:49], v[32:33]
	v_add_f64 v[22:23], v[62:63], -v[64:65]
	v_add_f64 v[28:29], v[8:9], v[10:11]
	v_add_f64 v[8:9], v[8:9], -v[10:11]
	v_add_f64 v[10:11], v[16:17], -v[18:19]
	v_add_f64 v[36:37], v[54:55], v[56:57]
	v_fma_f64 v[52:53], v[52:53], v[26:27], -v[88:89]
	v_fma_f64 v[58:59], v[58:59], v[30:31], -v[90:91]
	v_add_f64 v[14:15], v[54:55], -v[56:57]
	v_add_f64 v[26:27], v[16:17], v[18:19]
	v_add_f64 v[30:31], v[0:1], v[2:3]
	;; [unrolled: 1-line block ×3, first 2 shown]
	v_add_f64 v[34:35], v[0:1], -v[2:3]
	v_add_f64 v[0:1], v[4:5], -v[6:7]
	v_add_f64 v[38:39], v[62:63], v[64:65]
	v_mul_f64 v[4:5], v[22:23], s[2:3]
	s_waitcnt lgkmcnt(0)
	v_fma_f64 v[6:7], v[28:29], s[14:15], v[70:71]
	v_mul_f64 v[42:43], v[10:11], s[2:3]
	v_fma_f64 v[44:45], v[36:37], s[14:15], v[74:75]
	v_add_f64 v[12:13], v[60:61], -v[66:67]
	v_add_f64 v[40:41], v[60:61], v[66:67]
	v_add_f64 v[2:3], v[52:53], v[58:59]
	v_add_f64 v[24:25], v[52:53], -v[58:59]
	v_fma_f64 v[4:5], v[14:15], s[6:7], -v[4:5]
	v_fma_f64 v[6:7], v[26:27], s[12:13], v[6:7]
	v_fma_f64 v[42:43], v[8:9], s[6:7], -v[42:43]
	v_fma_f64 v[44:45], v[38:39], s[12:13], v[44:45]
	v_add_f64 v[46:47], v[28:29], v[32:33]
	v_fma_f64 v[60:61], v[26:27], s[14:15], v[70:71]
	v_mul_f64 v[66:67], v[22:23], s[6:7]
	v_mul_f64 v[76:77], v[10:11], s[6:7]
	v_fma_f64 v[4:5], v[12:13], s[0:1], v[4:5]
	v_fma_f64 v[6:7], v[30:31], -0.5, v[6:7]
	v_fma_f64 v[42:43], v[34:35], s[0:1], v[42:43]
	v_fma_f64 v[44:45], v[40:41], -0.5, v[44:45]
	v_add_f64 v[48:49], v[36:37], v[2:3]
	v_fma_f64 v[78:79], v[38:39], s[14:15], v[74:75]
	s_mov_b32 s7, 0x3fe491b7
	v_add_f64 v[52:53], v[22:23], v[24:25]
	v_add_f64 v[54:55], v[30:31], v[70:71]
	;; [unrolled: 1-line block ×3, first 2 shown]
	v_fma_f64 v[80:81], v[32:33], s[14:15], v[70:71]
	v_fma_f64 v[82:83], v[2:3], s[14:15], v[74:75]
	v_add_f64 v[84:85], v[30:31], v[46:47]
	v_add_f64 v[46:47], v[26:27], v[46:47]
	v_fma_f64 v[60:61], v[32:33], s[12:13], v[60:61]
	v_fma_f64 v[66:67], v[24:25], s[2:3], v[66:67]
	;; [unrolled: 1-line block ×3, first 2 shown]
	v_mul_f64 v[88:89], v[24:25], s[6:7]
	v_mul_f64 v[90:91], v[0:1], s[6:7]
	v_fma_f64 v[4:5], v[24:25], s[4:5], v[4:5]
	v_fma_f64 v[6:7], v[32:33], s[8:9], v[6:7]
	;; [unrolled: 1-line block ×4, first 2 shown]
	v_add_f64 v[58:59], v[74:75], v[40:41]
	v_add_f64 v[86:87], v[40:41], v[48:49]
	;; [unrolled: 1-line block ×3, first 2 shown]
	v_fma_f64 v[78:79], v[2:3], s[12:13], v[78:79]
	v_fma_f64 v[80:81], v[28:29], s[12:13], v[80:81]
	;; [unrolled: 1-line block ×3, first 2 shown]
	v_add_f64 v[16:17], v[16:17], v[84:85]
	v_fma_f64 v[42:43], v[46:47], -0.5, v[54:55]
	v_fma_f64 v[46:47], v[30:31], -0.5, v[60:61]
	v_fma_f64 v[54:55], v[14:15], s[2:3], v[88:89]
	v_add_f64 v[2:3], v[6:7], -v[4:5]
	v_add_f64 v[0:1], v[24:25], v[0:1]
	v_fma_f64 v[60:61], v[8:9], s[2:3], v[90:91]
	v_add_f64 v[32:33], v[62:63], v[86:87]
	v_fma_f64 v[44:45], v[48:49], -0.5, v[58:59]
	v_fma_f64 v[48:49], v[12:13], s[16:17], v[66:67]
	v_fma_f64 v[58:59], v[34:35], s[16:17], v[76:77]
	v_fma_f64 v[62:63], v[40:41], -0.5, v[78:79]
	v_add_f64 v[52:53], v[52:53], -v[14:15]
	v_add_f64 v[56:57], v[56:57], -v[8:9]
	v_add_f64 v[66:67], v[18:19], v[16:17]
	v_fma_f64 v[12:13], v[12:13], s[0:1], v[54:55]
	v_fma_f64 v[6:7], v[4:5], 2.0, v[2:3]
	v_fma_f64 v[4:5], v[24:25], -2.0, v[0:1]
	v_fma_f64 v[16:17], v[30:31], -0.5, v[80:81]
	v_fma_f64 v[18:19], v[34:35], s[0:1], v[60:61]
	v_fma_f64 v[24:25], v[40:41], -0.5, v[82:83]
	v_fma_f64 v[28:29], v[28:29], s[8:9], v[46:47]
	v_fma_f64 v[30:31], v[14:15], s[4:5], v[48:49]
	v_fma_f64 v[34:35], v[8:9], s[4:5], v[58:59]
	v_fma_f64 v[36:37], v[36:37], s[8:9], v[62:63]
	v_add_f64 v[32:33], v[64:65], v[32:33]
	v_fma_f64 v[40:41], v[22:23], s[4:5], v[12:13]
	v_fma_f64 v[16:17], v[26:27], s[8:9], v[16:17]
	;; [unrolled: 1-line block ×4, first 2 shown]
	v_mul_f64 v[26:27], v[52:53], s[0:1]
	v_fma_f64 v[10:11], v[52:53], s[16:17], v[42:43]
	v_mul_f64 v[38:39], v[56:57], s[0:1]
	v_fma_f64 v[8:9], v[56:57], s[0:1], v[44:45]
	v_add_f64 v[14:15], v[28:29], -v[30:31]
	v_add_f64 v[12:13], v[34:35], v[36:37]
	v_add_f64 v[18:19], v[16:17], -v[40:41]
	v_add_f64 v[16:17], v[46:47], v[22:23]
	v_add_f64 v[24:25], v[70:71], v[66:67]
	;; [unrolled: 1-line block ×3, first 2 shown]
	v_fma_f64 v[28:29], v[26:27], 2.0, v[10:11]
	v_fma_f64 v[26:27], v[38:39], -2.0, v[8:9]
	v_mov_b32_e32 v38, s11
	v_add_co_u32_e32 v39, vcc, s10, v20
	v_addc_co_u32_e32 v38, vcc, v38, v21, vcc
	v_lshlrev_b64 v[20:21], 4, v[68:69]
	v_fma_f64 v[32:33], v[30:31], 2.0, v[14:15]
	v_add_co_u32_e32 v39, vcc, v39, v20
	v_addc_co_u32_e32 v38, vcc, v38, v21, vcc
	v_lshlrev_b64 v[20:21], 4, v[72:73]
	v_fma_f64 v[30:31], v[34:35], -2.0, v[12:13]
	v_add_co_u32_e32 v20, vcc, v39, v20
	v_addc_co_u32_e32 v21, vcc, v38, v21, vcc
	v_fma_f64 v[36:37], v[40:41], 2.0, v[18:19]
	v_fma_f64 v[34:35], v[46:47], -2.0, v[16:17]
	global_store_dwordx4 v[20:21], v[22:25], off
	global_store_dwordx4 v[20:21], v[16:19], off offset:208
	global_store_dwordx4 v[20:21], v[12:15], off offset:416
	;; [unrolled: 1-line block ×8, first 2 shown]
.LBB0_19:
	s_endpgm
	.section	.rodata,"a",@progbits
	.p2align	6, 0x0
	.amdhsa_kernel fft_rtc_fwd_len117_factors_13_9_wgs_52_tpt_13_halfLds_dp_op_CI_CI_unitstride_sbrr_dirReg
		.amdhsa_group_segment_fixed_size 0
		.amdhsa_private_segment_fixed_size 0
		.amdhsa_kernarg_size 104
		.amdhsa_user_sgpr_count 6
		.amdhsa_user_sgpr_private_segment_buffer 1
		.amdhsa_user_sgpr_dispatch_ptr 0
		.amdhsa_user_sgpr_queue_ptr 0
		.amdhsa_user_sgpr_kernarg_segment_ptr 1
		.amdhsa_user_sgpr_dispatch_id 0
		.amdhsa_user_sgpr_flat_scratch_init 0
		.amdhsa_user_sgpr_private_segment_size 0
		.amdhsa_uses_dynamic_stack 0
		.amdhsa_system_sgpr_private_segment_wavefront_offset 0
		.amdhsa_system_sgpr_workgroup_id_x 1
		.amdhsa_system_sgpr_workgroup_id_y 0
		.amdhsa_system_sgpr_workgroup_id_z 0
		.amdhsa_system_sgpr_workgroup_info 0
		.amdhsa_system_vgpr_workitem_id 0
		.amdhsa_next_free_vgpr 123
		.amdhsa_next_free_sgpr 42
		.amdhsa_reserve_vcc 1
		.amdhsa_reserve_flat_scratch 0
		.amdhsa_float_round_mode_32 0
		.amdhsa_float_round_mode_16_64 0
		.amdhsa_float_denorm_mode_32 3
		.amdhsa_float_denorm_mode_16_64 3
		.amdhsa_dx10_clamp 1
		.amdhsa_ieee_mode 1
		.amdhsa_fp16_overflow 0
		.amdhsa_exception_fp_ieee_invalid_op 0
		.amdhsa_exception_fp_denorm_src 0
		.amdhsa_exception_fp_ieee_div_zero 0
		.amdhsa_exception_fp_ieee_overflow 0
		.amdhsa_exception_fp_ieee_underflow 0
		.amdhsa_exception_fp_ieee_inexact 0
		.amdhsa_exception_int_div_zero 0
	.end_amdhsa_kernel
	.text
.Lfunc_end0:
	.size	fft_rtc_fwd_len117_factors_13_9_wgs_52_tpt_13_halfLds_dp_op_CI_CI_unitstride_sbrr_dirReg, .Lfunc_end0-fft_rtc_fwd_len117_factors_13_9_wgs_52_tpt_13_halfLds_dp_op_CI_CI_unitstride_sbrr_dirReg
                                        ; -- End function
	.section	.AMDGPU.csdata,"",@progbits
; Kernel info:
; codeLenInByte = 7056
; NumSgprs: 46
; NumVgprs: 123
; ScratchSize: 0
; MemoryBound: 1
; FloatMode: 240
; IeeeMode: 1
; LDSByteSize: 0 bytes/workgroup (compile time only)
; SGPRBlocks: 5
; VGPRBlocks: 30
; NumSGPRsForWavesPerEU: 46
; NumVGPRsForWavesPerEU: 123
; Occupancy: 2
; WaveLimiterHint : 1
; COMPUTE_PGM_RSRC2:SCRATCH_EN: 0
; COMPUTE_PGM_RSRC2:USER_SGPR: 6
; COMPUTE_PGM_RSRC2:TRAP_HANDLER: 0
; COMPUTE_PGM_RSRC2:TGID_X_EN: 1
; COMPUTE_PGM_RSRC2:TGID_Y_EN: 0
; COMPUTE_PGM_RSRC2:TGID_Z_EN: 0
; COMPUTE_PGM_RSRC2:TIDIG_COMP_CNT: 0
	.type	__hip_cuid_a4e2f97833ef9663,@object ; @__hip_cuid_a4e2f97833ef9663
	.section	.bss,"aw",@nobits
	.globl	__hip_cuid_a4e2f97833ef9663
__hip_cuid_a4e2f97833ef9663:
	.byte	0                               ; 0x0
	.size	__hip_cuid_a4e2f97833ef9663, 1

	.ident	"AMD clang version 19.0.0git (https://github.com/RadeonOpenCompute/llvm-project roc-6.4.0 25133 c7fe45cf4b819c5991fe208aaa96edf142730f1d)"
	.section	".note.GNU-stack","",@progbits
	.addrsig
	.addrsig_sym __hip_cuid_a4e2f97833ef9663
	.amdgpu_metadata
---
amdhsa.kernels:
  - .args:
      - .actual_access:  read_only
        .address_space:  global
        .offset:         0
        .size:           8
        .value_kind:     global_buffer
      - .offset:         8
        .size:           8
        .value_kind:     by_value
      - .actual_access:  read_only
        .address_space:  global
        .offset:         16
        .size:           8
        .value_kind:     global_buffer
      - .actual_access:  read_only
        .address_space:  global
        .offset:         24
        .size:           8
        .value_kind:     global_buffer
      - .actual_access:  read_only
        .address_space:  global
        .offset:         32
        .size:           8
        .value_kind:     global_buffer
      - .offset:         40
        .size:           8
        .value_kind:     by_value
      - .actual_access:  read_only
        .address_space:  global
        .offset:         48
        .size:           8
        .value_kind:     global_buffer
      - .actual_access:  read_only
        .address_space:  global
        .offset:         56
        .size:           8
        .value_kind:     global_buffer
      - .offset:         64
        .size:           4
        .value_kind:     by_value
      - .actual_access:  read_only
        .address_space:  global
        .offset:         72
        .size:           8
        .value_kind:     global_buffer
      - .actual_access:  read_only
        .address_space:  global
        .offset:         80
        .size:           8
        .value_kind:     global_buffer
      - .actual_access:  read_only
        .address_space:  global
        .offset:         88
        .size:           8
        .value_kind:     global_buffer
      - .actual_access:  write_only
        .address_space:  global
        .offset:         96
        .size:           8
        .value_kind:     global_buffer
    .group_segment_fixed_size: 0
    .kernarg_segment_align: 8
    .kernarg_segment_size: 104
    .language:       OpenCL C
    .language_version:
      - 2
      - 0
    .max_flat_workgroup_size: 52
    .name:           fft_rtc_fwd_len117_factors_13_9_wgs_52_tpt_13_halfLds_dp_op_CI_CI_unitstride_sbrr_dirReg
    .private_segment_fixed_size: 0
    .sgpr_count:     46
    .sgpr_spill_count: 0
    .symbol:         fft_rtc_fwd_len117_factors_13_9_wgs_52_tpt_13_halfLds_dp_op_CI_CI_unitstride_sbrr_dirReg.kd
    .uniform_work_group_size: 1
    .uses_dynamic_stack: false
    .vgpr_count:     123
    .vgpr_spill_count: 0
    .wavefront_size: 64
amdhsa.target:   amdgcn-amd-amdhsa--gfx906
amdhsa.version:
  - 1
  - 2
...

	.end_amdgpu_metadata
